;; amdgpu-corpus repo=zjin-lcf/HeCBench kind=compiled arch=gfx906 opt=O3
	.amdgcn_target "amdgcn-amd-amdhsa--gfx906"
	.amdhsa_code_object_version 6
	.section	.text._Z4adamIffEvPT_S1_S1_PKT0_fffffim10adamMode_tf,"axG",@progbits,_Z4adamIffEvPT_S1_S1_PKT0_fffffim10adamMode_tf,comdat
	.protected	_Z4adamIffEvPT_S1_S1_PKT0_fffffim10adamMode_tf ; -- Begin function _Z4adamIffEvPT_S1_S1_PKT0_fffffim10adamMode_tf
	.globl	_Z4adamIffEvPT_S1_S1_PKT0_fffffim10adamMode_tf
	.p2align	8
	.type	_Z4adamIffEvPT_S1_S1_PKT0_fffffim10adamMode_tf,@function
_Z4adamIffEvPT_S1_S1_PKT0_fffffim10adamMode_tf: ; @_Z4adamIffEvPT_S1_S1_PKT0_fffffim10adamMode_tf
; %bb.0:
	s_load_dword s2, s[4:5], 0x54
	s_load_dwordx2 s[20:21], s[4:5], 0x38
	s_add_u32 s0, s4, 0x48
	s_addc_u32 s1, s5, 0
	v_mov_b32_e32 v1, 0
	s_waitcnt lgkmcnt(0)
	s_and_b32 s2, s2, 0xffff
	s_mul_i32 s6, s6, s2
	v_add_u32_e32 v0, s6, v0
	v_cmp_gt_u64_e32 vcc, s[20:21], v[0:1]
	s_and_saveexec_b64 s[6:7], vcc
	s_cbranch_execz .LBB0_11
; %bb.1:
	s_load_dword s3, s[0:1], 0x0
	s_load_dwordx2 s[6:7], s[4:5], 0x30
	s_load_dwordx4 s[16:19], s[4:5], 0x0
	s_load_dwordx8 s[8:15], s[4:5], 0x10
	s_load_dwordx2 s[22:23], s[4:5], 0x40
	s_waitcnt lgkmcnt(0)
	s_mul_i32 s30, s3, s2
	s_cmp_gt_i32 s7, 0
	s_cselect_b64 s[0:1], -1, 0
	v_cndmask_b32_e64 v2, 0, 1, s[0:1]
	s_cmp_lg_u32 s22, 0
	v_sub_f32_e64 v8, 1.0, s12
	v_mov_b32_e32 v9, s13
	v_sub_f32_e64 v10, 1.0, s13
	v_cmp_eq_f32_e64 s[4:5], s12, 1.0
	v_cmp_eq_f32_e64 s[24:25], s13, 1.0
	s_mov_b64 s[26:27], 0
	s_cselect_b64 s[28:29], -1, 0
	v_cmp_ne_u32_e64 s[0:1], 1, v2
	s_mov_b32 s22, 0x3f2aaaab
	v_mov_b32_e32 v11, 0x3ecccdef
	s_mov_b32 s31, 0x3f317218
	s_movk_i32 s33, 0x204
	s_mov_b32 s34, 0x7f800000
	s_mov_b32 s35, 0x42b17218
	;; [unrolled: 1-line block ×4, first 2 shown]
	s_brev_b32 s38, -2
	s_mov_b32 s39, 0xf800000
	v_mov_b32_e32 v12, 0x260
	v_mov_b32_e32 v13, 0x37000000
	;; [unrolled: 1-line block ×4, first 2 shown]
	s_branch .LBB0_4
.LBB0_2:                                ;   in Loop: Header=BB0_4 Depth=1
	global_store_dword v[2:3], v20, off
	global_store_dword v[4:5], v19, off
	;; [unrolled: 1-line block ×3, first 2 shown]
.LBB0_3:                                ;   in Loop: Header=BB0_4 Depth=1
	v_add_co_u32_e32 v0, vcc, s30, v0
	v_addc_co_u32_e32 v1, vcc, 0, v1, vcc
	v_cmp_le_u64_e32 vcc, s[20:21], v[0:1]
	s_or_b64 s[26:27], vcc, s[26:27]
	s_andn2_b64 exec, exec, s[26:27]
	s_cbranch_execz .LBB0_11
.LBB0_4:                                ; =>This Loop Header: Depth=1
                                        ;     Child Loop BB0_7 Depth 2
	s_and_b64 vcc, exec, s[0:1]
	s_cbranch_vccnz .LBB0_3
; %bb.5:                                ;   in Loop: Header=BB0_4 Depth=1
	v_lshlrev_b64 v[6:7], 2, v[0:1]
	v_mov_b32_e32 v3, s11
	v_add_co_u32_e32 v2, vcc, s10, v6
	v_addc_co_u32_e32 v3, vcc, v3, v7, vcc
	global_load_dword v2, v[2:3], off
	s_mov_b32 s40, 0
	s_waitcnt vmcnt(0)
	v_div_scale_f32 v3, s[2:3], s15, s15, v2
	v_rcp_f32_e32 v4, v3
	v_fma_f32 v5, -v3, v4, 1.0
	v_fmac_f32_e32 v4, v5, v4
	v_div_scale_f32 v5, vcc, v2, s15, v2
	v_mul_f32_e32 v16, v5, v4
	v_fma_f32 v17, -v3, v16, v5
	v_fmac_f32_e32 v16, v17, v4
	v_fma_f32 v3, -v3, v16, v5
	v_div_fmas_f32 v3, v3, v4, v16
	v_mov_b32_e32 v5, s9
	v_div_fixup_f32 v17, v3, s15, v2
	v_add_co_u32_e32 v2, vcc, s18, v6
	v_mov_b32_e32 v3, s19
	v_addc_co_u32_e32 v3, vcc, v3, v7, vcc
	v_add_co_u32_e32 v4, vcc, s8, v6
	v_addc_co_u32_e32 v5, vcc, v5, v7, vcc
	v_mul_f32_e32 v18, v10, v17
	v_mul_f32_e32 v16, v8, v17
	;; [unrolled: 1-line block ×3, first 2 shown]
	v_add_co_u32_e32 v6, vcc, s16, v6
	v_mov_b32_e32 v18, s17
	v_addc_co_u32_e32 v7, vcc, v18, v7, vcc
	global_load_dword v20, v[2:3], off
	global_load_dword v19, v[4:5], off
	;; [unrolled: 1-line block ×3, first 2 shown]
	s_branch .LBB0_7
.LBB0_6:                                ;   in Loop: Header=BB0_7 Depth=2
	v_cndmask_b32_e64 v23, v21, 1.0, s[4:5]
	v_mov_b32_e32 v21, s12
	v_cmp_neq_f32_e32 vcc, 0, v23
	v_cndmask_b32_e32 v21, 1.0, v21, vcc
	v_frexp_mant_f32_e64 v24, |v21|
	v_cmp_gt_f32_e32 vcc, s22, v24
	v_cndmask_b32_e64 v25, 1.0, 2.0, vcc
	v_mul_f32_e32 v24, v24, v25
	v_add_f32_e32 v25, 1.0, v24
	v_rcp_f32_e32 v26, v25
	v_add_f32_e32 v27, -1.0, v24
	v_add_f32_e32 v28, -1.0, v25
	v_sub_f32_e32 v24, v24, v28
	v_mul_f32_e32 v28, v27, v26
	v_mul_f32_e32 v29, v25, v28
	v_fma_f32 v25, v28, v25, -v29
	v_fmac_f32_e32 v25, v28, v24
	v_add_f32_e32 v24, v29, v25
	v_sub_f32_e32 v30, v27, v24
	v_sub_f32_e32 v29, v24, v29
	;; [unrolled: 1-line block ×5, first 2 shown]
	v_add_f32_e32 v24, v25, v24
	v_add_f32_e32 v24, v30, v24
	v_mul_f32_e32 v24, v26, v24
	v_add_f32_e32 v26, v28, v24
	v_sub_f32_e32 v25, v26, v28
	v_sub_f32_e32 v27, v24, v25
	v_mul_f32_e32 v24, v26, v26
	v_fma_f32 v25, v26, v26, -v24
	v_add_f32_e32 v28, v27, v27
	v_fmac_f32_e32 v25, v26, v28
	v_add_f32_e32 v28, v24, v25
	v_sub_f32_e32 v24, v28, v24
	v_sub_f32_e32 v24, v25, v24
	v_mul_f32_e32 v25, v26, v28
	v_fma_f32 v30, v28, v26, -v25
	v_fmac_f32_e32 v30, v28, v27
	v_mov_b32_e32 v29, 0x3e91f4c4
	v_fmac_f32_e32 v30, v24, v26
	v_fmac_f32_e32 v29, 0x3e76c4e1, v28
	v_add_f32_e32 v31, v25, v30
	v_fma_f32 v29, v28, v29, v11
	v_sub_f32_e32 v25, v31, v25
	v_sub_f32_e32 v30, v30, v25
	v_mul_f32_e32 v25, v28, v29
	v_fma_f32 v28, v28, v29, -v25
	v_fmac_f32_e32 v28, v24, v29
	v_add_f32_e32 v29, v25, v28
	v_sub_f32_e32 v33, v29, v25
	v_cvt_f64_f32_e64 v[24:25], |v21|
	v_add_f32_e32 v32, 0x3f2aaaaa, v29
	v_sub_f32_e32 v28, v28, v33
	v_add_f32_e32 v33, 0xbf2aaaaa, v32
	v_frexp_exp_i32_f64_e32 v24, v[24:25]
	v_add_f32_e32 v28, 0x31739010, v28
	v_sub_f32_e32 v25, v29, v33
	v_add_f32_e32 v25, v28, v25
	v_add_f32_e32 v28, v32, v25
	v_sub_f32_e32 v29, v32, v28
	v_add_f32_e32 v25, v25, v29
	v_mul_f32_e32 v29, v31, v28
	v_subbrev_co_u32_e32 v24, vcc, 0, v24, vcc
	v_cvt_f32_i32_e32 v24, v24
	v_fma_f32 v32, v31, v28, -v29
	v_fmac_f32_e32 v32, v31, v25
	v_fmac_f32_e32 v32, v30, v28
	v_mul_f32_e32 v25, 0x3f317218, v24
	v_fma_f32 v28, v24, s31, -v25
	v_fmac_f32_e32 v28, 0xb102e308, v24
	v_ldexp_f32 v24, v27, 1
	v_add_f32_e32 v27, v25, v28
	v_sub_f32_e32 v25, v27, v25
	v_ldexp_f32 v26, v26, 1
	v_sub_f32_e32 v25, v28, v25
	v_add_f32_e32 v28, v29, v32
	v_sub_f32_e32 v29, v28, v29
	v_add_f32_e32 v30, v26, v28
	v_sub_f32_e32 v29, v32, v29
	v_sub_f32_e32 v26, v30, v26
	v_sub_f32_e32 v26, v28, v26
	v_add_f32_e32 v24, v24, v29
	v_add_f32_e32 v24, v24, v26
	;; [unrolled: 1-line block ×3, first 2 shown]
	v_sub_f32_e32 v28, v26, v30
	v_sub_f32_e32 v24, v24, v28
	v_add_f32_e32 v28, v27, v26
	v_sub_f32_e32 v29, v28, v27
	v_sub_f32_e32 v30, v28, v29
	;; [unrolled: 1-line block ×4, first 2 shown]
	v_add_f32_e32 v26, v26, v27
	v_add_f32_e32 v27, v25, v24
	v_sub_f32_e32 v29, v27, v25
	v_sub_f32_e32 v30, v27, v29
	;; [unrolled: 1-line block ×4, first 2 shown]
	v_add_f32_e32 v24, v24, v25
	v_add_f32_e32 v25, v27, v26
	;; [unrolled: 1-line block ×3, first 2 shown]
	v_sub_f32_e32 v27, v26, v28
	v_sub_f32_e32 v25, v25, v27
	v_add_f32_e32 v24, v24, v25
	v_add_f32_e32 v25, v26, v24
	v_sub_f32_e32 v26, v25, v26
	v_sub_f32_e32 v24, v24, v26
	v_mul_f32_e32 v26, v23, v25
	v_fma_f32 v25, v23, v25, -v26
	v_fmac_f32_e32 v25, v23, v24
	v_add_f32_e32 v24, v26, v25
	v_cmp_class_f32_e64 vcc, v26, s33
	v_sub_f32_e32 v27, v24, v26
	v_cndmask_b32_e32 v24, v24, v26, vcc
	v_cmp_eq_f32_e32 vcc, s35, v24
	v_cndmask_b32_e32 v26, 0, v13, vcc
	v_sub_f32_e32 v25, v25, v27
	v_sub_f32_e32 v27, v24, v26
	v_mul_f32_e32 v28, 0x3fb8aa3b, v27
	v_fma_f32 v29, v27, s36, -v28
	v_rndne_f32_e32 v30, v28
	v_fmac_f32_e32 v29, 0x32a5705f, v27
	v_sub_f32_e32 v28, v28, v30
	v_add_f32_e32 v28, v28, v29
	v_exp_f32_e32 v28, v28
	v_cvt_i32_f32_e32 v29, v30
	v_cmp_neq_f32_e64 vcc, |v24|, s34
	v_cndmask_b32_e32 v24, 0, v25, vcc
	v_cmp_ngt_f32_e32 vcc, s37, v27
	v_ldexp_f32 v25, v28, v29
	v_cndmask_b32_e32 v25, 0, v25, vcc
	v_cmp_nlt_f32_e32 vcc, s35, v27
	v_add_f32_e32 v24, v26, v24
	v_cndmask_b32_e32 v25, v14, v25, vcc
	v_fma_f32 v24, v25, v24, v25
	v_cmp_class_f32_e64 vcc, v25, s33
	v_cndmask_b32_e32 v24, v24, v25, vcc
	v_trunc_f32_e32 v25, v23
	v_cmp_eq_f32_e32 vcc, v25, v23
	v_mul_f32_e32 v23, 0.5, v23
	v_trunc_f32_e32 v25, v23
	v_cmp_neq_f32_e64 s[2:3], v25, v23
	s_and_b64 s[2:3], vcc, s[2:3]
	v_cndmask_b32_e64 v23, 1.0, v21, s[2:3]
	v_bfi_b32 v23, s38, v24, v23
	v_cndmask_b32_e32 v24, v15, v23, vcc
	v_cmp_gt_f32_e32 vcc, 0, v21
	v_cndmask_b32_e32 v23, v23, v24, vcc
	v_cmp_eq_f32_e32 vcc, 0, v21
	v_cmp_class_f32_e64 s[42:43], v21, s33
	v_cndmask_b32_e64 v24, v14, 0, vcc
	v_cndmask_b32_e64 v25, 0, v21, s[2:3]
	v_bfi_b32 v24, s38, v24, v25
	s_or_b64 vcc, vcc, s[42:43]
	v_cndmask_b32_e32 v23, v23, v24, vcc
	v_sub_f32_e32 v23, 1.0, v23
	v_cmp_o_f32_e32 vcc, v21, v21
	v_fma_f32 v20, s12, v20, v16
	v_cndmask_b32_e32 v21, v15, v23, vcc
	v_div_scale_f32 v23, s[2:3], v21, v21, v20
	v_div_scale_f32 v24, vcc, v20, v21, v20
	s_cmp_eq_u32 s7, s40
	v_rcp_f32_e32 v25, v23
	v_fma_f32 v26, -v23, v25, 1.0
	v_fmac_f32_e32 v25, v26, v25
	v_mul_f32_e32 v26, v24, v25
	v_fma_f32 v27, -v23, v26, v24
	v_fmac_f32_e32 v26, v27, v25
	v_fma_f32 v23, -v23, v26, v24
	v_div_fmas_f32 v23, v23, v25, v26
	v_div_fixup_f32 v21, v23, v21, v20
	v_div_scale_f32 v23, s[2:3], v22, v22, v21
	v_div_scale_f32 v24, vcc, v21, v22, v21
	v_rcp_f32_e32 v25, v23
	v_fma_f32 v26, -v23, v25, 1.0
	v_fmac_f32_e32 v25, v26, v25
	v_mul_f32_e32 v26, v24, v25
	v_fma_f32 v27, -v23, v26, v24
	v_fmac_f32_e32 v26, v27, v25
	v_fma_f32 v23, -v23, v26, v24
	v_div_fmas_f32 v23, v23, v25, v26
	v_div_fixup_f32 v21, v23, v22, v21
	s_waitcnt vmcnt(0)
	v_fmac_f32_e32 v21, s23, v18
	v_fma_f32 v18, -s6, v21, v18
	s_cbranch_scc1 .LBB0_2
.LBB0_7:                                ;   Parent Loop BB0_4 Depth=1
                                        ; =>  This Inner Loop Header: Depth=2
	s_add_i32 s40, s40, 1
	v_cvt_f32_u32_e32 v21, s40
	s_waitcnt vmcnt(1)
	v_fma_f32 v19, s13, v19, v17
	v_cndmask_b32_e64 v23, v21, 1.0, s[24:25]
	v_cmp_neq_f32_e32 vcc, 0, v23
	v_cndmask_b32_e32 v22, 1.0, v9, vcc
	v_frexp_mant_f32_e64 v24, |v22|
	v_cmp_gt_f32_e32 vcc, s22, v24
	v_cndmask_b32_e64 v25, 1.0, 2.0, vcc
	v_mul_f32_e32 v24, v24, v25
	v_add_f32_e32 v25, 1.0, v24
	v_rcp_f32_e32 v26, v25
	v_add_f32_e32 v27, -1.0, v24
	v_add_f32_e32 v28, -1.0, v25
	v_sub_f32_e32 v24, v24, v28
	v_mul_f32_e32 v28, v27, v26
	v_mul_f32_e32 v29, v25, v28
	v_fma_f32 v25, v28, v25, -v29
	v_fmac_f32_e32 v25, v28, v24
	v_add_f32_e32 v24, v29, v25
	v_sub_f32_e32 v30, v27, v24
	v_sub_f32_e32 v29, v24, v29
	;; [unrolled: 1-line block ×5, first 2 shown]
	v_add_f32_e32 v24, v25, v24
	v_add_f32_e32 v24, v30, v24
	v_mul_f32_e32 v24, v26, v24
	v_add_f32_e32 v26, v28, v24
	v_sub_f32_e32 v25, v26, v28
	v_sub_f32_e32 v27, v24, v25
	v_mul_f32_e32 v24, v26, v26
	v_fma_f32 v25, v26, v26, -v24
	v_add_f32_e32 v28, v27, v27
	v_fmac_f32_e32 v25, v26, v28
	v_add_f32_e32 v28, v24, v25
	v_sub_f32_e32 v24, v28, v24
	v_sub_f32_e32 v24, v25, v24
	v_mul_f32_e32 v25, v26, v28
	v_fma_f32 v30, v28, v26, -v25
	v_fmac_f32_e32 v30, v28, v27
	v_mov_b32_e32 v29, 0x3e91f4c4
	v_fmac_f32_e32 v30, v24, v26
	v_fmac_f32_e32 v29, 0x3e76c4e1, v28
	v_add_f32_e32 v31, v25, v30
	v_fma_f32 v29, v28, v29, v11
	v_sub_f32_e32 v25, v31, v25
	v_sub_f32_e32 v30, v30, v25
	v_mul_f32_e32 v25, v28, v29
	v_fma_f32 v28, v28, v29, -v25
	v_fmac_f32_e32 v28, v24, v29
	v_add_f32_e32 v29, v25, v28
	v_sub_f32_e32 v33, v29, v25
	v_cvt_f64_f32_e64 v[24:25], |v22|
	v_add_f32_e32 v32, 0x3f2aaaaa, v29
	v_sub_f32_e32 v28, v28, v33
	v_add_f32_e32 v33, 0xbf2aaaaa, v32
	v_frexp_exp_i32_f64_e32 v24, v[24:25]
	v_add_f32_e32 v28, 0x31739010, v28
	v_sub_f32_e32 v25, v29, v33
	v_add_f32_e32 v25, v28, v25
	v_add_f32_e32 v28, v32, v25
	v_sub_f32_e32 v29, v32, v28
	v_add_f32_e32 v25, v25, v29
	v_mul_f32_e32 v29, v31, v28
	v_subbrev_co_u32_e32 v24, vcc, 0, v24, vcc
	v_cvt_f32_i32_e32 v24, v24
	v_fma_f32 v32, v31, v28, -v29
	v_fmac_f32_e32 v32, v31, v25
	v_fmac_f32_e32 v32, v30, v28
	v_mul_f32_e32 v25, 0x3f317218, v24
	v_fma_f32 v28, v24, s31, -v25
	v_fmac_f32_e32 v28, 0xb102e308, v24
	v_ldexp_f32 v24, v27, 1
	v_add_f32_e32 v27, v25, v28
	v_sub_f32_e32 v25, v27, v25
	v_ldexp_f32 v26, v26, 1
	v_sub_f32_e32 v25, v28, v25
	v_add_f32_e32 v28, v29, v32
	v_sub_f32_e32 v29, v28, v29
	v_add_f32_e32 v30, v26, v28
	v_sub_f32_e32 v29, v32, v29
	v_sub_f32_e32 v26, v30, v26
	;; [unrolled: 1-line block ×3, first 2 shown]
	v_add_f32_e32 v24, v24, v29
	v_add_f32_e32 v24, v24, v26
	;; [unrolled: 1-line block ×3, first 2 shown]
	v_sub_f32_e32 v28, v26, v30
	v_sub_f32_e32 v24, v24, v28
	v_add_f32_e32 v28, v27, v26
	v_sub_f32_e32 v29, v28, v27
	v_sub_f32_e32 v30, v28, v29
	;; [unrolled: 1-line block ×4, first 2 shown]
	v_add_f32_e32 v26, v26, v27
	v_add_f32_e32 v27, v25, v24
	v_sub_f32_e32 v29, v27, v25
	v_sub_f32_e32 v30, v27, v29
	;; [unrolled: 1-line block ×4, first 2 shown]
	v_add_f32_e32 v24, v24, v25
	v_add_f32_e32 v25, v27, v26
	;; [unrolled: 1-line block ×3, first 2 shown]
	v_sub_f32_e32 v27, v26, v28
	v_sub_f32_e32 v25, v25, v27
	v_add_f32_e32 v24, v24, v25
	v_add_f32_e32 v25, v26, v24
	v_sub_f32_e32 v26, v25, v26
	v_sub_f32_e32 v24, v24, v26
	v_mul_f32_e32 v26, v23, v25
	v_fma_f32 v25, v23, v25, -v26
	v_fmac_f32_e32 v25, v23, v24
	v_add_f32_e32 v24, v26, v25
	v_cmp_class_f32_e64 vcc, v26, s33
	v_sub_f32_e32 v27, v24, v26
	v_cndmask_b32_e32 v24, v24, v26, vcc
	v_cmp_eq_f32_e32 vcc, s35, v24
	v_cndmask_b32_e32 v26, 0, v13, vcc
	v_sub_f32_e32 v25, v25, v27
	v_sub_f32_e32 v27, v24, v26
	v_mul_f32_e32 v28, 0x3fb8aa3b, v27
	v_fma_f32 v29, v27, s36, -v28
	v_rndne_f32_e32 v30, v28
	v_fmac_f32_e32 v29, 0x32a5705f, v27
	v_sub_f32_e32 v28, v28, v30
	v_add_f32_e32 v28, v28, v29
	v_exp_f32_e32 v28, v28
	v_cvt_i32_f32_e32 v29, v30
	v_cmp_neq_f32_e64 vcc, |v24|, s34
	v_cndmask_b32_e32 v24, 0, v25, vcc
	v_cmp_ngt_f32_e32 vcc, s37, v27
	v_ldexp_f32 v25, v28, v29
	v_cndmask_b32_e32 v25, 0, v25, vcc
	v_cmp_nlt_f32_e32 vcc, s35, v27
	v_add_f32_e32 v24, v26, v24
	v_cndmask_b32_e32 v25, v14, v25, vcc
	v_fma_f32 v24, v25, v24, v25
	v_cmp_class_f32_e64 vcc, v25, s33
	v_cndmask_b32_e32 v24, v24, v25, vcc
	v_trunc_f32_e32 v25, v23
	v_cmp_eq_f32_e32 vcc, v25, v23
	v_mul_f32_e32 v23, 0.5, v23
	v_trunc_f32_e32 v25, v23
	v_cmp_neq_f32_e64 s[2:3], v25, v23
	s_and_b64 s[2:3], vcc, s[2:3]
	v_cndmask_b32_e64 v23, 1.0, v22, s[2:3]
	v_bfi_b32 v23, s38, v24, v23
	v_cndmask_b32_e32 v24, v15, v23, vcc
	v_cmp_gt_f32_e32 vcc, 0, v22
	v_cndmask_b32_e32 v23, v23, v24, vcc
	v_cmp_eq_f32_e32 vcc, 0, v22
	v_cmp_class_f32_e64 s[42:43], v22, s33
	v_cndmask_b32_e64 v24, v14, 0, vcc
	v_cndmask_b32_e64 v25, 0, v22, s[2:3]
	v_bfi_b32 v24, s38, v24, v25
	s_or_b64 vcc, vcc, s[42:43]
	v_cndmask_b32_e32 v23, v23, v24, vcc
	v_sub_f32_e32 v23, 1.0, v23
	v_cmp_o_f32_e32 vcc, v22, v22
	v_cndmask_b32_e32 v22, v15, v23, vcc
	v_div_scale_f32 v23, s[2:3], v22, v22, v19
	v_div_scale_f32 v24, vcc, v19, v22, v19
	v_rcp_f32_e32 v25, v23
	v_fma_f32 v26, -v23, v25, 1.0
	v_fmac_f32_e32 v25, v26, v25
	v_mul_f32_e32 v26, v24, v25
	v_fma_f32 v27, -v23, v26, v24
	v_fmac_f32_e32 v26, v27, v25
	v_fma_f32 v23, -v23, v26, v24
	v_div_fmas_f32 v23, v23, v25, v26
	s_and_b64 vcc, exec, s[28:29]
	v_div_fixup_f32 v23, v23, v22, v19
	s_cbranch_vccz .LBB0_9
; %bb.8:                                ;   in Loop: Header=BB0_7 Depth=2
	v_mul_f32_e32 v22, 0x4f800000, v23
	v_cmp_gt_f32_e32 vcc, s39, v23
	v_cndmask_b32_e32 v22, v23, v22, vcc
	v_sqrt_f32_e32 v24, v22
	v_add_u32_e32 v25, -1, v24
	v_fma_f32 v27, -v25, v24, v22
	v_add_u32_e32 v26, 1, v24
	v_cmp_ge_f32_e64 s[2:3], 0, v27
	v_cndmask_b32_e64 v25, v24, v25, s[2:3]
	v_fma_f32 v24, -v26, v24, v22
	v_cmp_lt_f32_e64 s[2:3], 0, v24
	v_cndmask_b32_e64 v24, v25, v26, s[2:3]
	v_mul_f32_e32 v25, 0x37800000, v24
	v_cndmask_b32_e32 v24, v24, v25, vcc
	v_cmp_class_f32_e32 vcc, v22, v12
	v_cndmask_b32_e32 v22, v24, v22, vcc
	v_add_f32_e32 v22, s14, v22
	s_cbranch_execnz .LBB0_6
	s_branch .LBB0_10
.LBB0_9:                                ;   in Loop: Header=BB0_7 Depth=2
                                        ; implicit-def: $vgpr22
.LBB0_10:                               ;   in Loop: Header=BB0_7 Depth=2
	v_add_f32_e32 v22, s14, v23
	v_mul_f32_e32 v23, 0x4f800000, v22
	v_cmp_gt_f32_e32 vcc, s39, v22
	v_cndmask_b32_e32 v22, v22, v23, vcc
	v_sqrt_f32_e32 v23, v22
	v_add_u32_e32 v24, -1, v23
	v_fma_f32 v26, -v24, v23, v22
	v_add_u32_e32 v25, 1, v23
	v_cmp_ge_f32_e64 s[2:3], 0, v26
	v_cndmask_b32_e64 v24, v23, v24, s[2:3]
	v_fma_f32 v23, -v25, v23, v22
	v_cmp_lt_f32_e64 s[2:3], 0, v23
	v_cndmask_b32_e64 v23, v24, v25, s[2:3]
	v_mul_f32_e32 v24, 0x37800000, v23
	v_cndmask_b32_e32 v23, v23, v24, vcc
	v_cmp_class_f32_e32 vcc, v22, v12
	v_cndmask_b32_e32 v22, v23, v22, vcc
	s_branch .LBB0_6
.LBB0_11:
	s_endpgm
	.section	.rodata,"a",@progbits
	.p2align	6, 0x0
	.amdhsa_kernel _Z4adamIffEvPT_S1_S1_PKT0_fffffim10adamMode_tf
		.amdhsa_group_segment_fixed_size 0
		.amdhsa_private_segment_fixed_size 0
		.amdhsa_kernarg_size 328
		.amdhsa_user_sgpr_count 6
		.amdhsa_user_sgpr_private_segment_buffer 1
		.amdhsa_user_sgpr_dispatch_ptr 0
		.amdhsa_user_sgpr_queue_ptr 0
		.amdhsa_user_sgpr_kernarg_segment_ptr 1
		.amdhsa_user_sgpr_dispatch_id 0
		.amdhsa_user_sgpr_flat_scratch_init 0
		.amdhsa_user_sgpr_private_segment_size 0
		.amdhsa_uses_dynamic_stack 0
		.amdhsa_system_sgpr_private_segment_wavefront_offset 0
		.amdhsa_system_sgpr_workgroup_id_x 1
		.amdhsa_system_sgpr_workgroup_id_y 0
		.amdhsa_system_sgpr_workgroup_id_z 0
		.amdhsa_system_sgpr_workgroup_info 0
		.amdhsa_system_vgpr_workitem_id 0
		.amdhsa_next_free_vgpr 34
		.amdhsa_next_free_sgpr 44
		.amdhsa_reserve_vcc 1
		.amdhsa_reserve_flat_scratch 0
		.amdhsa_float_round_mode_32 0
		.amdhsa_float_round_mode_16_64 0
		.amdhsa_float_denorm_mode_32 3
		.amdhsa_float_denorm_mode_16_64 3
		.amdhsa_dx10_clamp 1
		.amdhsa_ieee_mode 1
		.amdhsa_fp16_overflow 0
		.amdhsa_exception_fp_ieee_invalid_op 0
		.amdhsa_exception_fp_denorm_src 0
		.amdhsa_exception_fp_ieee_div_zero 0
		.amdhsa_exception_fp_ieee_overflow 0
		.amdhsa_exception_fp_ieee_underflow 0
		.amdhsa_exception_fp_ieee_inexact 0
		.amdhsa_exception_int_div_zero 0
	.end_amdhsa_kernel
	.section	.text._Z4adamIffEvPT_S1_S1_PKT0_fffffim10adamMode_tf,"axG",@progbits,_Z4adamIffEvPT_S1_S1_PKT0_fffffim10adamMode_tf,comdat
.Lfunc_end0:
	.size	_Z4adamIffEvPT_S1_S1_PKT0_fffffim10adamMode_tf, .Lfunc_end0-_Z4adamIffEvPT_S1_S1_PKT0_fffffim10adamMode_tf
                                        ; -- End function
	.set _Z4adamIffEvPT_S1_S1_PKT0_fffffim10adamMode_tf.num_vgpr, 34
	.set _Z4adamIffEvPT_S1_S1_PKT0_fffffim10adamMode_tf.num_agpr, 0
	.set _Z4adamIffEvPT_S1_S1_PKT0_fffffim10adamMode_tf.numbered_sgpr, 44
	.set _Z4adamIffEvPT_S1_S1_PKT0_fffffim10adamMode_tf.num_named_barrier, 0
	.set _Z4adamIffEvPT_S1_S1_PKT0_fffffim10adamMode_tf.private_seg_size, 0
	.set _Z4adamIffEvPT_S1_S1_PKT0_fffffim10adamMode_tf.uses_vcc, 1
	.set _Z4adamIffEvPT_S1_S1_PKT0_fffffim10adamMode_tf.uses_flat_scratch, 0
	.set _Z4adamIffEvPT_S1_S1_PKT0_fffffim10adamMode_tf.has_dyn_sized_stack, 0
	.set _Z4adamIffEvPT_S1_S1_PKT0_fffffim10adamMode_tf.has_recursion, 0
	.set _Z4adamIffEvPT_S1_S1_PKT0_fffffim10adamMode_tf.has_indirect_call, 0
	.section	.AMDGPU.csdata,"",@progbits
; Kernel info:
; codeLenInByte = 2572
; TotalNumSgprs: 48
; NumVgprs: 34
; ScratchSize: 0
; MemoryBound: 0
; FloatMode: 240
; IeeeMode: 1
; LDSByteSize: 0 bytes/workgroup (compile time only)
; SGPRBlocks: 5
; VGPRBlocks: 8
; NumSGPRsForWavesPerEU: 48
; NumVGPRsForWavesPerEU: 34
; Occupancy: 7
; WaveLimiterHint : 0
; COMPUTE_PGM_RSRC2:SCRATCH_EN: 0
; COMPUTE_PGM_RSRC2:USER_SGPR: 6
; COMPUTE_PGM_RSRC2:TRAP_HANDLER: 0
; COMPUTE_PGM_RSRC2:TGID_X_EN: 1
; COMPUTE_PGM_RSRC2:TGID_Y_EN: 0
; COMPUTE_PGM_RSRC2:TGID_Z_EN: 0
; COMPUTE_PGM_RSRC2:TIDIG_COMP_CNT: 0
	.section	.AMDGPU.gpr_maximums,"",@progbits
	.set amdgpu.max_num_vgpr, 0
	.set amdgpu.max_num_agpr, 0
	.set amdgpu.max_num_sgpr, 0
	.section	.AMDGPU.csdata,"",@progbits
	.type	__hip_cuid_5a9ea357c727729,@object ; @__hip_cuid_5a9ea357c727729
	.section	.bss,"aw",@nobits
	.globl	__hip_cuid_5a9ea357c727729
__hip_cuid_5a9ea357c727729:
	.byte	0                               ; 0x0
	.size	__hip_cuid_5a9ea357c727729, 1

	.ident	"AMD clang version 22.0.0git (https://github.com/RadeonOpenCompute/llvm-project roc-7.2.4 26084 f58b06dce1f9c15707c5f808fd002e18c2accf7e)"
	.section	".note.GNU-stack","",@progbits
	.addrsig
	.addrsig_sym __hip_cuid_5a9ea357c727729
	.amdgpu_metadata
---
amdhsa.kernels:
  - .args:
      - .address_space:  global
        .offset:         0
        .size:           8
        .value_kind:     global_buffer
      - .address_space:  global
        .offset:         8
        .size:           8
        .value_kind:     global_buffer
      - .address_space:  global
        .offset:         16
        .size:           8
        .value_kind:     global_buffer
      - .actual_access:  read_only
        .address_space:  global
        .offset:         24
        .size:           8
        .value_kind:     global_buffer
      - .offset:         32
        .size:           4
        .value_kind:     by_value
      - .offset:         36
        .size:           4
        .value_kind:     by_value
      - .offset:         40
        .size:           4
        .value_kind:     by_value
      - .offset:         44
        .size:           4
        .value_kind:     by_value
      - .offset:         48
        .size:           4
        .value_kind:     by_value
      - .offset:         52
        .size:           4
        .value_kind:     by_value
      - .offset:         56
        .size:           8
        .value_kind:     by_value
      - .offset:         64
        .size:           4
        .value_kind:     by_value
      - .offset:         68
        .size:           4
        .value_kind:     by_value
      - .offset:         72
        .size:           4
        .value_kind:     hidden_block_count_x
      - .offset:         76
        .size:           4
        .value_kind:     hidden_block_count_y
      - .offset:         80
        .size:           4
        .value_kind:     hidden_block_count_z
      - .offset:         84
        .size:           2
        .value_kind:     hidden_group_size_x
      - .offset:         86
        .size:           2
        .value_kind:     hidden_group_size_y
      - .offset:         88
        .size:           2
        .value_kind:     hidden_group_size_z
      - .offset:         90
        .size:           2
        .value_kind:     hidden_remainder_x
      - .offset:         92
        .size:           2
        .value_kind:     hidden_remainder_y
      - .offset:         94
        .size:           2
        .value_kind:     hidden_remainder_z
      - .offset:         112
        .size:           8
        .value_kind:     hidden_global_offset_x
      - .offset:         120
        .size:           8
        .value_kind:     hidden_global_offset_y
      - .offset:         128
        .size:           8
        .value_kind:     hidden_global_offset_z
      - .offset:         136
        .size:           2
        .value_kind:     hidden_grid_dims
    .group_segment_fixed_size: 0
    .kernarg_segment_align: 8
    .kernarg_segment_size: 328
    .language:       OpenCL C
    .language_version:
      - 2
      - 0
    .max_flat_workgroup_size: 1024
    .name:           _Z4adamIffEvPT_S1_S1_PKT0_fffffim10adamMode_tf
    .private_segment_fixed_size: 0
    .sgpr_count:     48
    .sgpr_spill_count: 0
    .symbol:         _Z4adamIffEvPT_S1_S1_PKT0_fffffim10adamMode_tf.kd
    .uniform_work_group_size: 1
    .uses_dynamic_stack: false
    .vgpr_count:     34
    .vgpr_spill_count: 0
    .wavefront_size: 64
amdhsa.target:   amdgcn-amd-amdhsa--gfx906
amdhsa.version:
  - 1
  - 2
...

	.end_amdgpu_metadata
